;; amdgpu-corpus repo=ROCm/rocFFT kind=compiled arch=gfx906 opt=O3
	.text
	.amdgcn_target "amdgcn-amd-amdhsa--gfx906"
	.amdhsa_code_object_version 6
	.protected	fft_rtc_back_len168_factors_7_6_4_wgs_252_tpt_42_halfLds_half_op_CI_CI_sbcc_twdbase6_3step_dirReg ; -- Begin function fft_rtc_back_len168_factors_7_6_4_wgs_252_tpt_42_halfLds_half_op_CI_CI_sbcc_twdbase6_3step_dirReg
	.globl	fft_rtc_back_len168_factors_7_6_4_wgs_252_tpt_42_halfLds_half_op_CI_CI_sbcc_twdbase6_3step_dirReg
	.p2align	8
	.type	fft_rtc_back_len168_factors_7_6_4_wgs_252_tpt_42_halfLds_half_op_CI_CI_sbcc_twdbase6_3step_dirReg,@function
fft_rtc_back_len168_factors_7_6_4_wgs_252_tpt_42_halfLds_half_op_CI_CI_sbcc_twdbase6_3step_dirReg: ; @fft_rtc_back_len168_factors_7_6_4_wgs_252_tpt_42_halfLds_half_op_CI_CI_sbcc_twdbase6_3step_dirReg
; %bb.0:
	s_load_dwordx8 s[8:15], s[4:5], 0x8
	s_load_dwordx2 s[2:3], s[4:5], 0x28
	s_movk_i32 s0, 0xc0
	v_cmp_gt_u32_e32 vcc, s0, v0
	s_and_saveexec_b64 s[0:1], vcc
	s_cbranch_execz .LBB0_2
; %bb.1:
	v_lshlrev_b32_e32 v1, 2, v0
	s_waitcnt lgkmcnt(0)
	global_load_dword v2, v1, s[8:9]
	v_add_u32_e32 v1, 0, v1
	s_waitcnt vmcnt(0)
	ds_write_b32 v1, v2 offset:2016
.LBB0_2:
	s_or_b64 exec, exec, s[0:1]
	s_waitcnt lgkmcnt(0)
	s_load_dwordx2 s[34:35], s[12:13], 0x8
	s_mov_b32 s7, 0
	s_mov_b64 s[30:31], 0
	s_waitcnt lgkmcnt(0)
	s_add_u32 s0, s34, -1
	s_addc_u32 s1, s35, -1
	s_add_u32 s8, 0, 0xaaa80000
	s_addc_u32 s9, 0, 0xaa
	s_mul_hi_u32 s17, s8, -6
	s_add_i32 s9, s9, 0x2aaaaa00
	s_sub_i32 s17, s17, s8
	s_mul_i32 s20, s9, -6
	s_mul_i32 s16, s8, -6
	s_add_i32 s17, s17, s20
	s_mul_hi_u32 s18, s9, s16
	s_mul_i32 s19, s9, s16
	s_mul_i32 s21, s8, s17
	s_mul_hi_u32 s16, s8, s16
	s_mul_hi_u32 s20, s8, s17
	s_add_u32 s16, s16, s21
	s_addc_u32 s20, 0, s20
	s_add_u32 s16, s16, s19
	s_mul_hi_u32 s21, s9, s17
	s_addc_u32 s16, s20, s18
	s_addc_u32 s18, s21, 0
	s_mul_i32 s17, s9, s17
	s_add_u32 s16, s16, s17
	v_mov_b32_e32 v1, s16
	s_addc_u32 s17, 0, s18
	v_add_co_u32_e32 v1, vcc, s8, v1
	s_cmp_lg_u64 vcc, 0
	s_addc_u32 s8, s9, s17
	v_readfirstlane_b32 s17, v1
	s_mul_i32 s16, s0, s8
	s_mul_hi_u32 s18, s0, s17
	s_mul_hi_u32 s9, s0, s8
	s_add_u32 s16, s18, s16
	s_addc_u32 s9, 0, s9
	s_mul_hi_u32 s19, s1, s17
	s_mul_i32 s17, s1, s17
	s_add_u32 s16, s16, s17
	s_mul_hi_u32 s18, s1, s8
	s_addc_u32 s9, s9, s19
	s_addc_u32 s16, s18, 0
	s_mul_i32 s8, s1, s8
	s_add_u32 s8, s9, s8
	s_addc_u32 s9, 0, s16
	s_add_u32 s16, s8, 1
	s_addc_u32 s17, s9, 0
	s_add_u32 s18, s8, 2
	s_mul_i32 s20, s9, 6
	s_mul_hi_u32 s21, s8, 6
	s_addc_u32 s19, s9, 0
	s_add_i32 s21, s21, s20
	s_mul_i32 s20, s8, 6
	v_mov_b32_e32 v1, s20
	v_sub_co_u32_e32 v1, vcc, s0, v1
	s_cmp_lg_u64 vcc, 0
	s_subb_u32 s0, s1, s21
	v_subrev_co_u32_e32 v2, vcc, 6, v1
	s_cmp_lg_u64 vcc, 0
	s_subb_u32 s1, s0, 0
	v_readfirstlane_b32 s20, v2
	s_cmp_gt_u32 s20, 5
	s_cselect_b32 s20, -1, 0
	s_cmp_eq_u32 s1, 0
	s_cselect_b32 s1, s20, -1
	s_cmp_lg_u32 s1, 0
	s_cselect_b32 s1, s18, s16
	s_cselect_b32 s16, s19, s17
	v_readfirstlane_b32 s17, v1
	s_cmp_gt_u32 s17, 5
	s_cselect_b32 s17, -1, 0
	s_cmp_eq_u32 s0, 0
	s_cselect_b32 s0, s17, -1
	s_cmp_lg_u32 s0, 0
	s_cselect_b32 s1, s1, s8
	s_cselect_b32 s0, s16, s9
	s_add_u32 s36, s1, 1
	s_addc_u32 s37, s0, 0
	v_mov_b32_e32 v1, s36
	v_mov_b32_e32 v2, s37
	v_cmp_lt_u64_e32 vcc, s[6:7], v[1:2]
	s_cbranch_vccnz .LBB0_4
; %bb.3:
	v_cvt_f32_u32_e32 v1, s36
	s_sub_i32 s0, 0, s36
	s_mov_b32 s31, s7
	v_rcp_iflag_f32_e32 v1, v1
	v_mul_f32_e32 v1, 0x4f7ffffe, v1
	v_cvt_u32_f32_e32 v1, v1
	v_readfirstlane_b32 s1, v1
	s_mul_i32 s0, s0, s1
	s_mul_hi_u32 s0, s1, s0
	s_add_i32 s1, s1, s0
	s_mul_hi_u32 s0, s6, s1
	s_mul_i32 s8, s0, s36
	s_sub_i32 s8, s6, s8
	s_add_i32 s1, s0, 1
	s_sub_i32 s9, s8, s36
	s_cmp_ge_u32 s8, s36
	s_cselect_b32 s0, s1, s0
	s_cselect_b32 s8, s9, s8
	s_add_i32 s1, s0, 1
	s_cmp_ge_u32 s8, s36
	s_cselect_b32 s30, s1, s0
.LBB0_4:
	s_mul_i32 s0, s30, s37
	s_mul_hi_u32 s1, s30, s36
	s_add_i32 s1, s1, s0
	s_mul_i32 s0, s30, s36
	s_load_dwordx4 s[20:23], s[4:5], 0x60
	s_load_dwordx2 s[28:29], s[4:5], 0x0
	s_load_dwordx4 s[24:27], s[14:15], 0x0
	s_load_dwordx4 s[16:19], s[2:3], 0x0
	s_sub_u32 s48, s6, s0
	s_subb_u32 s0, 0, s1
	s_mul_i32 s0, s0, 6
	s_mul_hi_u32 s33, s48, 6
	s_add_i32 s33, s33, s0
	s_mul_i32 s48, s48, 6
	s_waitcnt lgkmcnt(0)
	s_mul_i32 s0, s26, s33
	s_mul_hi_u32 s1, s26, s48
	s_add_i32 s0, s1, s0
	s_mul_i32 s1, s27, s48
	s_add_i32 s49, s0, s1
	s_mul_i32 s0, s18, s33
	s_mul_hi_u32 s1, s18, s48
	s_add_i32 s0, s1, s0
	s_mul_i32 s1, s19, s48
	s_add_i32 s9, s0, s1
	v_cmp_lt_u64_e64 s[0:1], s[10:11], 3
	s_mul_i32 s50, s26, s48
	s_mul_i32 s8, s18, s48
	s_and_b64 vcc, exec, s[0:1]
	s_cbranch_vccnz .LBB0_14
; %bb.5:
	s_add_u32 s4, s2, 16
	s_addc_u32 s5, s3, 0
	s_add_u32 s38, s14, 16
	s_addc_u32 s39, s15, 0
	s_add_u32 s12, s12, 16
	v_mov_b32_e32 v1, s10
	s_addc_u32 s13, s13, 0
	s_mov_b64 s[40:41], 2
	s_mov_b32 s42, 0
	v_mov_b32_e32 v2, s11
.LBB0_6:                                ; =>This Inner Loop Header: Depth=1
	s_load_dwordx2 s[44:45], s[12:13], 0x0
	s_waitcnt lgkmcnt(0)
	s_or_b64 s[0:1], s[30:31], s[44:45]
	s_mov_b32 s43, s1
	s_cmp_lg_u64 s[42:43], 0
	s_cbranch_scc0 .LBB0_11
; %bb.7:                                ;   in Loop: Header=BB0_6 Depth=1
	v_cvt_f32_u32_e32 v3, s44
	v_cvt_f32_u32_e32 v4, s45
	s_sub_u32 s0, 0, s44
	s_subb_u32 s1, 0, s45
	v_mac_f32_e32 v3, 0x4f800000, v4
	v_rcp_f32_e32 v3, v3
	v_mul_f32_e32 v3, 0x5f7ffffc, v3
	v_mul_f32_e32 v4, 0x2f800000, v3
	v_trunc_f32_e32 v4, v4
	v_mac_f32_e32 v3, 0xcf800000, v4
	v_cvt_u32_f32_e32 v4, v4
	v_cvt_u32_f32_e32 v3, v3
	v_readfirstlane_b32 s43, v4
	v_readfirstlane_b32 s46, v3
	s_mul_i32 s47, s0, s43
	s_mul_hi_u32 s52, s0, s46
	s_mul_i32 s51, s1, s46
	s_add_i32 s47, s52, s47
	s_mul_i32 s53, s0, s46
	s_add_i32 s47, s47, s51
	s_mul_hi_u32 s51, s46, s47
	s_mul_i32 s52, s46, s47
	s_mul_hi_u32 s46, s46, s53
	s_add_u32 s46, s46, s52
	s_addc_u32 s51, 0, s51
	s_mul_hi_u32 s54, s43, s53
	s_mul_i32 s53, s43, s53
	s_add_u32 s46, s46, s53
	s_mul_hi_u32 s52, s43, s47
	s_addc_u32 s46, s51, s54
	s_addc_u32 s51, s52, 0
	s_mul_i32 s47, s43, s47
	s_add_u32 s46, s46, s47
	s_addc_u32 s47, 0, s51
	v_add_co_u32_e32 v3, vcc, s46, v3
	s_cmp_lg_u64 vcc, 0
	s_addc_u32 s43, s43, s47
	v_readfirstlane_b32 s47, v3
	s_mul_i32 s46, s0, s43
	s_mul_hi_u32 s51, s0, s47
	s_add_i32 s46, s51, s46
	s_mul_i32 s1, s1, s47
	s_add_i32 s46, s46, s1
	s_mul_i32 s0, s0, s47
	s_mul_hi_u32 s51, s43, s0
	s_mul_i32 s52, s43, s0
	s_mul_i32 s54, s47, s46
	s_mul_hi_u32 s0, s47, s0
	s_mul_hi_u32 s53, s47, s46
	s_add_u32 s0, s0, s54
	s_addc_u32 s47, 0, s53
	s_add_u32 s0, s0, s52
	s_mul_hi_u32 s1, s43, s46
	s_addc_u32 s0, s47, s51
	s_addc_u32 s1, s1, 0
	s_mul_i32 s46, s43, s46
	s_add_u32 s0, s0, s46
	s_addc_u32 s1, 0, s1
	v_add_co_u32_e32 v3, vcc, s0, v3
	s_cmp_lg_u64 vcc, 0
	s_addc_u32 s0, s43, s1
	v_readfirstlane_b32 s46, v3
	s_mul_i32 s43, s30, s0
	s_mul_hi_u32 s47, s30, s46
	s_mul_hi_u32 s1, s30, s0
	s_add_u32 s43, s47, s43
	s_addc_u32 s1, 0, s1
	s_mul_hi_u32 s51, s31, s46
	s_mul_i32 s46, s31, s46
	s_add_u32 s43, s43, s46
	s_mul_hi_u32 s47, s31, s0
	s_addc_u32 s1, s1, s51
	s_addc_u32 s43, s47, 0
	s_mul_i32 s0, s31, s0
	s_add_u32 s46, s1, s0
	s_addc_u32 s43, 0, s43
	s_mul_i32 s0, s44, s43
	s_mul_hi_u32 s1, s44, s46
	s_add_i32 s0, s1, s0
	s_mul_i32 s1, s45, s46
	s_add_i32 s47, s0, s1
	s_mul_i32 s1, s44, s46
	v_mov_b32_e32 v3, s1
	s_sub_i32 s0, s31, s47
	v_sub_co_u32_e32 v3, vcc, s30, v3
	s_cmp_lg_u64 vcc, 0
	s_subb_u32 s51, s0, s45
	v_subrev_co_u32_e64 v4, s[0:1], s44, v3
	s_cmp_lg_u64 s[0:1], 0
	s_subb_u32 s0, s51, 0
	s_cmp_ge_u32 s0, s45
	v_readfirstlane_b32 s51, v4
	s_cselect_b32 s1, -1, 0
	s_cmp_ge_u32 s51, s44
	s_cselect_b32 s51, -1, 0
	s_cmp_eq_u32 s0, s45
	s_cselect_b32 s0, s51, s1
	s_add_u32 s1, s46, 1
	s_addc_u32 s51, s43, 0
	s_add_u32 s52, s46, 2
	s_addc_u32 s53, s43, 0
	s_cmp_lg_u32 s0, 0
	s_cselect_b32 s0, s52, s1
	s_cselect_b32 s1, s53, s51
	s_cmp_lg_u64 vcc, 0
	s_subb_u32 s47, s31, s47
	s_cmp_ge_u32 s47, s45
	v_readfirstlane_b32 s52, v3
	s_cselect_b32 s51, -1, 0
	s_cmp_ge_u32 s52, s44
	s_cselect_b32 s52, -1, 0
	s_cmp_eq_u32 s47, s45
	s_cselect_b32 s47, s52, s51
	s_cmp_lg_u32 s47, 0
	s_cselect_b32 s1, s1, s43
	s_cselect_b32 s0, s0, s46
	s_cbranch_execnz .LBB0_9
.LBB0_8:                                ;   in Loop: Header=BB0_6 Depth=1
	v_cvt_f32_u32_e32 v3, s44
	s_sub_i32 s0, 0, s44
	v_rcp_iflag_f32_e32 v3, v3
	v_mul_f32_e32 v3, 0x4f7ffffe, v3
	v_cvt_u32_f32_e32 v3, v3
	v_readfirstlane_b32 s1, v3
	s_mul_i32 s0, s0, s1
	s_mul_hi_u32 s0, s1, s0
	s_add_i32 s1, s1, s0
	s_mul_hi_u32 s0, s30, s1
	s_mul_i32 s43, s0, s44
	s_sub_i32 s43, s30, s43
	s_add_i32 s1, s0, 1
	s_sub_i32 s46, s43, s44
	s_cmp_ge_u32 s43, s44
	s_cselect_b32 s0, s1, s0
	s_cselect_b32 s43, s46, s43
	s_add_i32 s1, s0, 1
	s_cmp_ge_u32 s43, s44
	s_cselect_b32 s0, s1, s0
	s_mov_b32 s1, s42
.LBB0_9:                                ;   in Loop: Header=BB0_6 Depth=1
	s_mul_i32 s37, s44, s37
	s_mul_hi_u32 s43, s44, s36
	s_add_i32 s37, s43, s37
	s_mul_i32 s43, s45, s36
	s_add_i32 s37, s37, s43
	s_mul_i32 s43, s0, s45
	s_mul_hi_u32 s45, s0, s44
	s_load_dwordx2 s[46:47], s[38:39], 0x0
	s_add_i32 s43, s45, s43
	s_mul_i32 s45, s1, s44
	s_mul_i32 s36, s44, s36
	s_add_i32 s43, s43, s45
	s_mul_i32 s44, s0, s44
	s_sub_u32 s44, s30, s44
	s_subb_u32 s43, s31, s43
	s_waitcnt lgkmcnt(0)
	s_mul_i32 s30, s46, s43
	s_mul_hi_u32 s31, s46, s44
	s_add_i32 s45, s31, s30
	s_load_dwordx2 s[30:31], s[4:5], 0x0
	s_mul_i32 s47, s47, s44
	s_add_i32 s45, s45, s47
	s_mul_i32 s46, s46, s44
	s_add_u32 s50, s46, s50
	s_addc_u32 s49, s45, s49
	s_waitcnt lgkmcnt(0)
	s_mul_i32 s43, s30, s43
	s_mul_hi_u32 s45, s30, s44
	s_add_i32 s43, s45, s43
	s_mul_i32 s31, s31, s44
	s_add_i32 s43, s43, s31
	s_mul_i32 s30, s30, s44
	s_add_u32 s8, s30, s8
	s_addc_u32 s9, s43, s9
	s_add_u32 s40, s40, 1
	s_addc_u32 s41, s41, 0
	;; [unrolled: 2-line block ×4, first 2 shown]
	v_cmp_ge_u64_e32 vcc, s[40:41], v[1:2]
	s_add_u32 s12, s12, 8
	s_addc_u32 s13, s13, 0
	s_cbranch_vccnz .LBB0_12
; %bb.10:                               ;   in Loop: Header=BB0_6 Depth=1
	s_mov_b64 s[30:31], s[0:1]
	s_branch .LBB0_6
.LBB0_11:                               ;   in Loop: Header=BB0_6 Depth=1
                                        ; implicit-def: $sgpr0_sgpr1
	s_branch .LBB0_8
.LBB0_12:
	v_mov_b32_e32 v1, s36
	v_mov_b32_e32 v2, s37
	v_cmp_lt_u64_e32 vcc, s[6:7], v[1:2]
	s_mov_b64 s[30:31], 0
	s_cbranch_vccnz .LBB0_14
; %bb.13:
	v_cvt_f32_u32_e32 v1, s36
	s_sub_i32 s0, 0, s36
	v_rcp_iflag_f32_e32 v1, v1
	v_mul_f32_e32 v1, 0x4f7ffffe, v1
	v_cvt_u32_f32_e32 v1, v1
	v_readfirstlane_b32 s1, v1
	s_mul_i32 s0, s0, s1
	s_mul_hi_u32 s0, s1, s0
	s_add_i32 s1, s1, s0
	s_mul_hi_u32 s0, s6, s1
	s_mul_i32 s4, s0, s36
	s_sub_i32 s4, s6, s4
	s_add_i32 s1, s0, 1
	s_sub_i32 s5, s4, s36
	s_cmp_ge_u32 s4, s36
	s_cselect_b32 s0, s1, s0
	s_cselect_b32 s4, s5, s4
	s_add_i32 s1, s0, 1
	s_cmp_ge_u32 s4, s36
	s_cselect_b32 s30, s1, s0
.LBB0_14:
	s_lshl_b64 s[0:1], s[10:11], 3
	s_add_u32 s4, s14, s0
	s_addc_u32 s5, s15, s1
	s_load_dwordx2 s[4:5], s[4:5], 0x0
	s_mov_b32 s6, 0x2aaaaaab
	v_mul_hi_u32 v4, v0, s6
                                        ; implicit-def: $vgpr7
                                        ; implicit-def: $vgpr13
                                        ; implicit-def: $vgpr14
                                        ; implicit-def: $vgpr15
                                        ; implicit-def: $vgpr16
                                        ; implicit-def: $vgpr18
                                        ; implicit-def: $vgpr17
	s_waitcnt lgkmcnt(0)
	s_mul_i32 s5, s5, s30
	s_mul_hi_u32 s6, s4, s30
	s_mul_i32 s4, s4, s30
	s_add_i32 s6, s6, s5
	s_add_u32 s4, s4, s50
	s_addc_u32 s5, s6, s49
	s_add_u32 s6, s2, s0
	s_addc_u32 s7, s3, s1
	v_mul_u32_u24_e32 v1, 6, v4
	v_sub_u32_e32 v3, v0, v1
	s_add_u32 s0, s48, 6
	v_mov_b32_e32 v1, s34
	s_addc_u32 s1, s33, 0
	v_mov_b32_e32 v2, s35
	v_cmp_le_u64_e32 vcc, s[0:1], v[1:2]
	s_movk_i32 s0, 0x90
	v_cmp_gt_u32_e64 s[2:3], s0, v0
	s_and_b64 s[0:1], s[2:3], vcc
	v_add_u32_e32 v6, 24, v4
	v_add_u32_e32 v5, 48, v4
	s_and_saveexec_b64 s[10:11], s[0:1]
	s_cbranch_execz .LBB0_16
; %bb.15:
	v_mad_u64_u32 v[1:2], s[0:1], s26, v3, 0
	v_mad_u64_u32 v[7:8], s[0:1], s24, v4, 0
	;; [unrolled: 1-line block ×3, first 2 shown]
	v_mov_b32_e32 v2, v8
	v_mad_u64_u32 v[10:11], s[0:1], s25, v4, v[2:3]
	s_lshl_b64 s[0:1], s[4:5], 2
	s_add_u32 s12, s20, s0
	s_addc_u32 s0, s21, s1
	v_mov_b32_e32 v2, v9
	v_mov_b32_e32 v8, v10
	;; [unrolled: 1-line block ×3, first 2 shown]
	v_mad_u64_u32 v[9:10], s[0:1], s24, v6, 0
	v_lshlrev_b64 v[1:2], 2, v[1:2]
	v_add_u32_e32 v17, 0x90, v4
	v_add_co_u32_e64 v15, s[0:1], s12, v1
	v_addc_co_u32_e64 v16, s[0:1], v11, v2, s[0:1]
	v_lshlrev_b64 v[1:2], 2, v[7:8]
	v_mov_b32_e32 v7, v10
	v_mad_u64_u32 v[7:8], s[0:1], s25, v6, v[7:8]
	v_mad_u64_u32 v[11:12], s[0:1], s24, v5, 0
	v_mov_b32_e32 v10, v7
	v_add_co_u32_e64 v1, s[0:1], v15, v1
	v_lshlrev_b64 v[7:8], 2, v[9:10]
	v_mov_b32_e32 v9, v12
	v_addc_co_u32_e64 v2, s[0:1], v16, v2, s[0:1]
	v_mad_u64_u32 v[9:10], s[0:1], s25, v5, v[9:10]
	v_add_u32_e32 v10, 0x48, v4
	v_mad_u64_u32 v[13:14], s[0:1], s24, v10, 0
	v_add_co_u32_e64 v19, s[0:1], v15, v7
	v_mov_b32_e32 v12, v9
	v_mov_b32_e32 v9, v14
	v_addc_co_u32_e64 v20, s[0:1], v16, v8, s[0:1]
	v_lshlrev_b64 v[7:8], 2, v[11:12]
	v_mad_u64_u32 v[9:10], s[0:1], s25, v10, v[9:10]
	v_add_u32_e32 v12, 0x60, v4
	v_mad_u64_u32 v[10:11], s[0:1], s24, v12, 0
	v_add_co_u32_e64 v21, s[0:1], v15, v7
	v_mov_b32_e32 v14, v9
	v_mov_b32_e32 v9, v11
	v_addc_co_u32_e64 v22, s[0:1], v16, v8, s[0:1]
	v_mad_u64_u32 v[11:12], s[0:1], s25, v12, v[9:10]
	v_lshlrev_b64 v[7:8], 2, v[13:14]
	v_add_u32_e32 v13, 0x78, v4
	v_add_co_u32_e64 v23, s[0:1], v15, v7
	v_addc_co_u32_e64 v24, s[0:1], v16, v8, s[0:1]
	v_lshlrev_b64 v[7:8], 2, v[10:11]
	v_mad_u64_u32 v[9:10], s[0:1], s24, v13, 0
	v_add_co_u32_e64 v11, s[0:1], v15, v7
	v_mov_b32_e32 v7, v10
	v_addc_co_u32_e64 v12, s[0:1], v16, v8, s[0:1]
	v_mad_u64_u32 v[7:8], s[0:1], s25, v13, v[7:8]
	v_mad_u64_u32 v[13:14], s[0:1], s24, v17, 0
	v_mov_b32_e32 v10, v7
	v_lshlrev_b64 v[7:8], 2, v[9:10]
	v_mov_b32_e32 v9, v14
	v_mad_u64_u32 v[9:10], s[0:1], s25, v17, v[9:10]
	v_add_co_u32_e64 v25, s[0:1], v15, v7
	v_mov_b32_e32 v14, v9
	v_addc_co_u32_e64 v26, s[0:1], v16, v8, s[0:1]
	v_lshlrev_b64 v[7:8], 2, v[13:14]
	v_add_co_u32_e64 v9, s[0:1], v15, v7
	v_addc_co_u32_e64 v10, s[0:1], v16, v8, s[0:1]
	global_load_dword v7, v[1:2], off
	global_load_dword v13, v[19:20], off
	;; [unrolled: 1-line block ×7, first 2 shown]
.LBB0_16:
	s_or_b64 exec, exec, s[10:11]
	v_mov_b32_e32 v2, s33
	v_add_co_u32_e64 v1, s[0:1], s48, v3
	v_addc_co_u32_e64 v2, s[0:1], 0, v2, s[0:1]
	v_cmp_gt_u64_e64 s[0:1], s[34:35], v[1:2]
	s_xor_b64 s[10:11], vcc, -1
	s_and_b64 s[12:13], s[2:3], s[0:1]
	s_and_b64 s[12:13], s[10:11], s[12:13]
	s_and_saveexec_b64 s[10:11], s[12:13]
	s_cbranch_execz .LBB0_18
; %bb.17:
	s_waitcnt vmcnt(6)
	v_mad_u64_u32 v[7:8], s[12:13], s26, v3, 0
	v_mad_u64_u32 v[9:10], s[12:13], s24, v4, 0
	v_mov_b32_e32 v2, v8
	v_mad_u64_u32 v[11:12], s[12:13], s27, v3, v[2:3]
	v_mov_b32_e32 v2, v10
	s_waitcnt vmcnt(5)
	v_mad_u64_u32 v[12:13], s[12:13], s25, v4, v[2:3]
	s_lshl_b64 s[4:5], s[4:5], 2
	s_add_u32 s12, s20, s4
	s_addc_u32 s4, s21, s5
	v_mov_b32_e32 v8, v11
	v_mov_b32_e32 v10, v12
	;; [unrolled: 1-line block ×3, first 2 shown]
	v_mad_u64_u32 v[11:12], s[4:5], s24, v6, 0
	v_lshlrev_b64 v[7:8], 2, v[7:8]
	s_waitcnt vmcnt(3)
	v_add_co_u32_e64 v15, s[4:5], s12, v7
	s_waitcnt vmcnt(2)
	v_addc_co_u32_e64 v16, s[4:5], v2, v8, s[4:5]
	v_mov_b32_e32 v2, v12
	v_lshlrev_b64 v[7:8], 2, v[9:10]
	v_mad_u64_u32 v[9:10], s[4:5], s25, v6, v[2:3]
	v_mad_u64_u32 v[13:14], s[4:5], s24, v5, 0
	v_add_co_u32_e64 v19, s[4:5], v15, v7
	v_mov_b32_e32 v12, v9
	v_mov_b32_e32 v2, v14
	v_addc_co_u32_e64 v20, s[4:5], v16, v8, s[4:5]
	v_lshlrev_b64 v[6:7], 2, v[11:12]
	v_mad_u64_u32 v[8:9], s[4:5], s25, v5, v[2:3]
	v_add_u32_e32 v11, 0x48, v4
	v_mad_u64_u32 v[9:10], s[4:5], s24, v11, 0
	v_add_co_u32_e64 v5, s[4:5], v15, v6
	v_mov_b32_e32 v14, v8
	v_mov_b32_e32 v2, v10
	v_addc_co_u32_e64 v6, s[4:5], v16, v7, s[4:5]
	v_lshlrev_b64 v[7:8], 2, v[13:14]
	v_mad_u64_u32 v[10:11], s[4:5], s25, v11, v[2:3]
	v_add_u32_e32 v13, 0x60, v4
	v_mad_u64_u32 v[11:12], s[4:5], s24, v13, 0
	v_add_co_u32_e64 v21, s[4:5], v15, v7
	v_mov_b32_e32 v2, v12
	v_addc_co_u32_e64 v22, s[4:5], v16, v8, s[4:5]
	v_lshlrev_b64 v[7:8], 2, v[9:10]
	v_mad_u64_u32 v[9:10], s[4:5], s25, v13, v[2:3]
	v_add_u32_e32 v10, 0x78, v4
	v_mad_u64_u32 v[13:14], s[4:5], s24, v10, 0
	v_add_co_u32_e64 v23, s[4:5], v15, v7
	v_mov_b32_e32 v12, v9
	v_mov_b32_e32 v2, v14
	v_addc_co_u32_e64 v24, s[4:5], v16, v8, s[4:5]
	v_lshlrev_b64 v[7:8], 2, v[11:12]
	v_mad_u64_u32 v[9:10], s[4:5], s25, v10, v[2:3]
	v_add_u32_e32 v12, 0x90, v4
	v_mad_u64_u32 v[10:11], s[4:5], s24, v12, 0
	v_add_co_u32_e64 v25, s[4:5], v15, v7
	v_mov_b32_e32 v2, v11
	v_addc_co_u32_e64 v26, s[4:5], v16, v8, s[4:5]
	v_mov_b32_e32 v14, v9
	v_mad_u64_u32 v[11:12], s[4:5], s25, v12, v[2:3]
	v_lshlrev_b64 v[7:8], 2, v[13:14]
	v_add_co_u32_e64 v27, s[4:5], v15, v7
	v_addc_co_u32_e64 v28, s[4:5], v16, v8, s[4:5]
	v_lshlrev_b64 v[7:8], 2, v[10:11]
	v_add_co_u32_e64 v9, s[4:5], v15, v7
	v_addc_co_u32_e64 v10, s[4:5], v16, v8, s[4:5]
	global_load_dword v7, v[19:20], off
	global_load_dword v13, v[5:6], off
	;; [unrolled: 1-line block ×7, first 2 shown]
.LBB0_18:
	s_or_b64 exec, exec, s[10:11]
	s_waitcnt vmcnt(0)
	v_sub_f16_sdwa v2, v13, v18 dst_sel:DWORD dst_unused:UNUSED_PAD src0_sel:WORD_1 src1_sel:WORD_1
	v_sub_f16_sdwa v5, v14, v17 dst_sel:DWORD dst_unused:UNUSED_PAD src0_sel:WORD_1 src1_sel:WORD_1
	;; [unrolled: 1-line block ×3, first 2 shown]
	v_add_f16_e32 v8, v13, v18
	v_add_f16_e32 v9, v14, v17
	;; [unrolled: 1-line block ×3, first 2 shown]
	v_sub_f16_e32 v19, v11, v9
	v_add_f16_e32 v20, v6, v5
	v_sub_f16_e32 v21, v6, v5
	v_sub_f16_e32 v22, v5, v2
	v_add_f16_e32 v5, v8, v9
	v_sub_f16_e32 v10, v9, v8
	v_sub_f16_e32 v12, v8, v11
	v_add_f16_e32 v8, v11, v5
	s_movk_i32 s4, 0x3a52
	v_mul_f16_e32 v11, 0x2b26, v19
	v_mul_f16_e32 v9, 0x3a52, v12
	v_fma_f16 v12, v12, s4, v11
	s_movk_i32 s4, 0x39e0
	v_fma_f16 v11, v10, s4, -v11
	s_mov_b32 s4, 0xb9e0
	v_sub_f16_e32 v6, v2, v6
	v_mul_f16_e32 v19, 0x3846, v21
	v_fma_f16 v9, v10, s4, -v9
	s_mov_b32 s4, 0xb574
	v_add_f16_e32 v2, v2, v20
	v_add_f16_e32 v5, v7, v8
	s_mov_b32 s5, 0xbb00
	v_mul_f16_e32 v20, 0xbb00, v22
	s_mov_b32 s10, 0xbcab
	v_fma_f16 v10, v6, s4, v19
	s_movk_i32 s4, 0x3574
	v_fma_f16 v8, v8, s10, v5
	v_fma_f16 v21, v22, s5, -v19
	v_fma_f16 v20, v6, s4, -v20
	s_mov_b32 s4, 0xb70e
	v_add_f16_e32 v6, v12, v8
	v_add_f16_e32 v22, v11, v8
	;; [unrolled: 1-line block ×3, first 2 shown]
	v_fma_f16 v19, v2, s4, v10
	v_fma_f16 v9, v2, s4, v21
	;; [unrolled: 1-line block ×3, first 2 shown]
	v_add_f16_e32 v12, v19, v6
	v_add_f16_e32 v11, v2, v23
	v_sub_f16_e32 v8, v22, v9
	v_add_f16_e32 v9, v9, v22
	v_sub_f16_e32 v10, v23, v2
	v_lshlrev_b32_e32 v2, 1, v3
	s_and_saveexec_b64 s[4:5], s[2:3]
	s_cbranch_execz .LBB0_20
; %bb.19:
	v_sub_f16_e32 v6, v6, v19
	v_mul_u32_u24_e32 v19, 0x54, v4
	v_add3_u32 v19, 0, v19, v2
	ds_write_b16 v19, v5
	ds_write_b16 v19, v12 offset:12
	ds_write_b16 v19, v11 offset:24
	;; [unrolled: 1-line block ×6, first 2 shown]
.LBB0_20:
	s_or_b64 exec, exec, s[4:5]
	s_movk_i32 s4, 0xa8
	v_cmp_gt_u32_e64 s[4:5], s4, v0
	v_mul_u32_u24_e32 v6, 12, v4
	s_waitcnt lgkmcnt(0)
	s_barrier
	s_and_saveexec_b64 s[10:11], s[4:5]
	s_cbranch_execz .LBB0_22
; %bb.21:
	v_add3_u32 v10, 0, v6, v2
	ds_read_u16 v5, v10
	ds_read_u16 v12, v10 offset:336
	ds_read_u16 v11, v10 offset:672
	;; [unrolled: 1-line block ×5, first 2 shown]
.LBB0_22:
	s_or_b64 exec, exec, s[10:11]
	v_add_f16_sdwa v19, v13, v18 dst_sel:DWORD dst_unused:UNUSED_PAD src0_sel:WORD_1 src1_sel:WORD_1
	v_add_f16_sdwa v20, v14, v17 dst_sel:DWORD dst_unused:UNUSED_PAD src0_sel:WORD_1 src1_sel:WORD_1
	v_add_f16_sdwa v21, v15, v16 dst_sel:DWORD dst_unused:UNUSED_PAD src0_sel:WORD_1 src1_sel:WORD_1
	v_add_f16_e32 v22, v19, v20
	v_sub_f16_e32 v23, v20, v19
	v_sub_f16_e32 v20, v21, v20
	;; [unrolled: 1-line block ×9, first 2 shown]
	v_add_f16_e32 v14, v15, v14
	s_movk_i32 s10, 0x3a52
	v_mul_f16_e32 v15, 0x2b26, v20
	v_add_f16_e32 v14, v13, v14
	v_mul_f16_e32 v13, 0x3a52, v19
	v_fma_f16 v19, v19, s10, v15
	s_movk_i32 s10, 0x39e0
	v_fma_f16 v15, v23, s10, -v15
	s_mov_b32 s10, 0xb9e0
	v_add_f16_e32 v21, v21, v22
	v_mul_f16_e32 v16, 0x3846, v16
	v_fma_f16 v22, v23, s10, -v13
	s_mov_b32 s10, 0xb574
	v_add_f16_sdwa v7, v7, v21 dst_sel:DWORD dst_unused:UNUSED_PAD src0_sel:WORD_1 src1_sel:DWORD
	s_mov_b32 s11, 0xbb00
	v_mul_f16_e32 v20, 0xbb00, v18
	s_mov_b32 s12, 0xbcab
	v_fma_f16 v23, v17, s10, v16
	s_movk_i32 s10, 0x3574
	v_fma_f16 v21, v21, s12, v7
	v_fma_f16 v16, v18, s11, -v16
	v_fma_f16 v17, v17, s10, -v20
	s_mov_b32 s10, 0xb70e
	v_add_f16_e32 v13, v19, v21
	v_add_f16_e32 v15, v15, v21
	;; [unrolled: 1-line block ×3, first 2 shown]
	v_fma_f16 v19, v14, s10, v23
	v_fma_f16 v21, v14, s10, v16
	;; [unrolled: 1-line block ×3, first 2 shown]
	v_sub_f16_e32 v18, v13, v19
	v_sub_f16_e32 v17, v20, v14
	v_add_f16_e32 v16, v21, v15
	v_sub_f16_e32 v15, v15, v21
	v_add_f16_e32 v14, v14, v20
	s_waitcnt lgkmcnt(0)
	s_barrier
	s_and_saveexec_b64 s[10:11], s[2:3]
	s_cbranch_execz .LBB0_24
; %bb.23:
	v_add_f16_e32 v13, v19, v13
	v_mul_u32_u24_e32 v19, 0x54, v4
	v_add3_u32 v19, 0, v19, v2
	ds_write_b16 v19, v7
	ds_write_b16 v19, v18 offset:12
	ds_write_b16 v19, v17 offset:24
	;; [unrolled: 1-line block ×6, first 2 shown]
.LBB0_24:
	s_or_b64 exec, exec, s[10:11]
	s_waitcnt lgkmcnt(0)
	s_barrier
	s_and_saveexec_b64 s[2:3], s[4:5]
	s_cbranch_execz .LBB0_26
; %bb.25:
	v_add3_u32 v13, 0, v6, v2
	ds_read_u16 v7, v13
	ds_read_u16 v18, v13 offset:336
	ds_read_u16 v17, v13 offset:672
	;; [unrolled: 1-line block ×5, first 2 shown]
.LBB0_26:
	s_or_b64 exec, exec, s[2:3]
	s_mov_b32 s2, 0x24924925
	v_mul_hi_u32 v13, v4, s2
	s_mov_b32 s10, 0xbaee
	s_movk_i32 s11, 0x3aee
	v_mul_u32_u24_e32 v13, 7, v13
	v_sub_u32_e32 v13, v4, v13
	v_mul_u32_u24_e32 v19, 5, v13
	v_lshlrev_b32_e32 v23, 2, v19
	global_load_dwordx4 v[19:22], v23, s[28:29]
	global_load_dword v25, v23, s[28:29] offset:16
	s_waitcnt vmcnt(0) lgkmcnt(0)
	s_barrier
	v_mul_f16_sdwa v23, v18, v19 dst_sel:DWORD dst_unused:UNUSED_PAD src0_sel:DWORD src1_sel:WORD_1
	v_mul_f16_sdwa v26, v12, v19 dst_sel:DWORD dst_unused:UNUSED_PAD src0_sel:DWORD src1_sel:WORD_1
	;; [unrolled: 1-line block ×6, first 2 shown]
	v_fma_f16 v24, v12, v19, v23
	v_fma_f16 v12, v18, v19, -v26
	v_mul_f16_sdwa v26, v14, v25 dst_sel:DWORD dst_unused:UNUSED_PAD src0_sel:DWORD src1_sel:WORD_1
	v_fma_f16 v18, v11, v20, v27
	v_mul_f16_sdwa v27, v10, v25 dst_sel:DWORD dst_unused:UNUSED_PAD src0_sel:DWORD src1_sel:WORD_1
	v_mul_f16_sdwa v28, v11, v20 dst_sel:DWORD dst_unused:UNUSED_PAD src0_sel:DWORD src1_sel:WORD_1
	;; [unrolled: 1-line block ×3, first 2 shown]
	v_fma_f16 v8, v8, v21, v29
	v_fma_f16 v11, v16, v21, -v30
	v_fma_f16 v19, v9, v22, v31
	v_fma_f16 v9, v10, v25, v26
	v_fma_f16 v10, v14, v25, -v27
	v_add_f16_e32 v14, v8, v9
	v_add_f16_e32 v16, v11, v10
	v_fma_f16 v22, v15, v22, -v23
	v_sub_f16_e32 v15, v11, v10
	v_sub_f16_e32 v21, v8, v9
	v_fma_f16 v14, v14, -0.5, v24
	v_fma_f16 v25, v16, -0.5, v12
	v_fma_f16 v17, v17, v20, -v28
	v_fma_f16 v20, v15, s10, v14
	v_fma_f16 v16, v15, s11, v14
	;; [unrolled: 1-line block ×4, first 2 shown]
	v_mul_lo_u16_e32 v15, 37, v4
	s_and_saveexec_b64 s[2:3], s[4:5]
	s_cbranch_execz .LBB0_28
; %bb.27:
	v_add_f16_e32 v14, v18, v19
	v_fma_f16 v14, v14, -0.5, v5
	v_sub_f16_e32 v25, v17, v22
	v_fma_f16 v26, v25, s11, v14
	v_fma_f16 v14, v25, s10, v14
	v_add_f16_e32 v8, v24, v8
	v_mul_f16_e32 v24, 0xbaee, v21
	v_mul_f16_e32 v25, 0xbaee, v23
	v_add_f16_e32 v5, v5, v18
	v_fma_f16 v24, v16, -0.5, v24
	v_add_f16_e32 v8, v8, v9
	v_fma_f16 v25, v20, 0.5, v25
	v_add_f16_e32 v5, v5, v19
	v_sub_f16_e32 v9, v26, v24
	v_add_f16_e32 v24, v26, v24
	v_sub_f16_e32 v26, v14, v25
	;; [unrolled: 2-line block ×3, first 2 shown]
	v_add_f16_e32 v5, v5, v8
	v_lshrrev_b16_e32 v8, 8, v15
	v_mad_u32_u24 v8, v8, 42, v13
	v_mul_i32_i24_e32 v8, 12, v8
	v_add3_u32 v8, 0, v8, v2
	ds_write_b16 v8, v5
	ds_write_b16 v8, v14 offset:84
	ds_write_b16 v8, v24 offset:168
	;; [unrolled: 1-line block ×5, first 2 shown]
.LBB0_28:
	s_or_b64 exec, exec, s[2:3]
	v_add3_u32 v14, 0, v6, v2
	s_waitcnt lgkmcnt(0)
	s_barrier
	ds_read_u16 v5, v14
	ds_read_u16 v8, v14 offset:504
	ds_read_u16 v6, v14 offset:1008
	;; [unrolled: 1-line block ×3, first 2 shown]
	s_waitcnt lgkmcnt(0)
	s_barrier
	s_and_saveexec_b64 s[2:3], s[4:5]
	s_cbranch_execz .LBB0_30
; %bb.29:
	v_lshrrev_b16_e32 v15, 8, v15
	v_add_f16_e32 v24, v7, v17
	v_add_f16_e32 v17, v17, v22
	;; [unrolled: 1-line block ×3, first 2 shown]
	v_mad_u32_u24 v13, v15, 42, v13
	v_add_f16_e32 v24, v24, v22
	v_fma_f16 v7, v17, -0.5, v7
	v_sub_f16_e32 v17, v18, v19
	s_movk_i32 s4, 0x3aee
	s_mov_b32 s5, 0xbaee
	v_add_f16_e32 v10, v11, v10
	v_mul_f16_e32 v12, 0.5, v23
	v_mul_f16_e32 v19, -0.5, v21
	v_mul_i32_i24_e32 v13, 12, v13
	v_fma_f16 v18, v17, s4, v7
	v_fma_f16 v7, v17, s5, v7
	v_add_f16_e32 v11, v24, v10
	v_fma_f16 v12, v20, s4, v12
	v_fma_f16 v16, v16, s4, v19
	v_add3_u32 v2, 0, v13, v2
	v_add_f16_e32 v17, v18, v12
	v_add_f16_e32 v19, v7, v16
	v_sub_f16_e32 v10, v24, v10
	v_sub_f16_e32 v12, v18, v12
	;; [unrolled: 1-line block ×3, first 2 shown]
	ds_write_b16 v2, v11
	ds_write_b16 v2, v17 offset:84
	ds_write_b16 v2, v19 offset:168
	;; [unrolled: 1-line block ×5, first 2 shown]
.LBB0_30:
	s_or_b64 exec, exec, s[2:3]
	s_or_b64 s[0:1], vcc, s[0:1]
	s_waitcnt lgkmcnt(0)
	s_barrier
	s_and_saveexec_b64 s[2:3], s[0:1]
	s_cbranch_execz .LBB0_32
; %bb.31:
	s_mov_b32 s0, 0x6186187
	v_mul_hi_u32 v2, v4, s0
	s_movk_i32 s3, 0xffd6
	v_mul_lo_u32 v15, v1, s3
	s_add_i32 s2, 0, 0x7e0
	v_mul_u32_u24_e32 v2, 42, v2
	v_sub_u32_e32 v2, v4, v2
	v_mul_u32_u24_e32 v4, 3, v2
	v_lshlrev_b32_e32 v4, 2, v4
	global_load_dwordx3 v[10:12], v4, s[28:29] offset:140
	v_add_u32_e32 v16, 0x7e, v2
	v_mul_lo_u32 v16, v16, v1
	s_load_dwordx2 s[0:1], s[6:7], 0x0
	ds_read_u16 v4, v14
	ds_read_u16 v7, v14 offset:1512
	ds_read_u16 v13, v14 offset:1008
	ds_read_u16 v14, v14 offset:504
	v_mul_lo_u32 v1, v2, v1
	v_lshrrev_b32_e32 v17, 10, v16
	v_and_b32_e32 v18, 63, v16
	v_lshrrev_b32_e32 v19, 4, v16
	v_add_u32_e32 v16, v16, v15
	v_and_b32_e32 v17, 0xfc, v17
	v_and_b32_e32 v19, 0xfc, v19
	v_lshrrev_b32_e32 v20, 10, v16
	v_and_b32_e32 v21, 63, v16
	v_lshrrev_b32_e32 v22, 4, v16
	v_add_u32_e32 v15, v16, v15
	v_add_u32_e32 v16, s2, v17
	;; [unrolled: 1-line block ×3, first 2 shown]
	v_and_b32_e32 v19, 0xfc, v20
	v_lshl_add_u32 v20, v21, 2, 0
	v_and_b32_e32 v21, 0xfc, v22
	v_lshrrev_b32_e32 v22, 10, v15
	v_and_b32_e32 v23, 63, v15
	v_and_b32_e32 v22, 0xfc, v22
	v_lshl_add_u32 v18, v18, 2, 0
	v_add_u32_e32 v19, s2, v19
	v_add_u32_e32 v21, s2, v21
	v_lshl_add_u32 v23, v23, 2, 0
	v_add_u32_e32 v22, s2, v22
	ds_read_b32 v16, v16 offset:512
	ds_read_b32 v18, v18 offset:2016
	;; [unrolled: 1-line block ×8, first 2 shown]
	s_waitcnt lgkmcnt(0)
	v_lshrrev_b32_e32 v24, 16, v18
	v_mul_f16_sdwa v25, v18, v17 dst_sel:DWORD dst_unused:UNUSED_PAD src0_sel:DWORD src1_sel:WORD_1
	v_mul_f16_sdwa v26, v24, v17 dst_sel:DWORD dst_unused:UNUSED_PAD src0_sel:DWORD src1_sel:WORD_1
	v_fma_f16 v24, v24, v17, v25
	v_lshrrev_b32_e32 v25, 16, v20
	v_fma_f16 v17, v18, v17, -v26
	v_mul_f16_sdwa v18, v20, v21 dst_sel:DWORD dst_unused:UNUSED_PAD src0_sel:DWORD src1_sel:WORD_1
	v_mul_f16_sdwa v26, v24, v16 dst_sel:DWORD dst_unused:UNUSED_PAD src0_sel:DWORD src1_sel:WORD_1
	v_fma_f16 v18, v25, v21, v18
	v_mul_f16_sdwa v25, v25, v21 dst_sel:DWORD dst_unused:UNUSED_PAD src0_sel:DWORD src1_sel:WORD_1
	v_fma_f16 v26, v16, v17, -v26
	v_mul_f16_sdwa v17, v17, v16 dst_sel:DWORD dst_unused:UNUSED_PAD src0_sel:DWORD src1_sel:WORD_1
	v_fma_f16 v20, v20, v21, -v25
	v_mul_f16_sdwa v21, v18, v19 dst_sel:DWORD dst_unused:UNUSED_PAD src0_sel:DWORD src1_sel:WORD_1
	v_fma_f16 v16, v16, v24, v17
	v_fma_f16 v17, v19, v20, -v21
	v_lshrrev_b32_e32 v15, 4, v15
	v_and_b32_e32 v15, 0xfc, v15
	v_add_u32_e32 v15, s2, v15
	ds_read_b32 v15, v15 offset:256
	s_mul_i32 s1, s1, s30
	s_mul_hi_u32 s3, s0, s30
	s_add_i32 s1, s3, s1
	s_mul_i32 s0, s0, s30
	s_lshl_b64 s[0:1], s[0:1], 2
	s_waitcnt vmcnt(0)
	v_mul_f16_sdwa v21, v6, v11 dst_sel:DWORD dst_unused:UNUSED_PAD src0_sel:DWORD src1_sel:WORD_1
	v_mul_f16_sdwa v24, v14, v10 dst_sel:DWORD dst_unused:UNUSED_PAD src0_sel:DWORD src1_sel:WORD_1
	;; [unrolled: 1-line block ×3, first 2 shown]
	v_fma_f16 v21, v13, v11, -v21
	v_mul_f16_sdwa v13, v13, v11 dst_sel:DWORD dst_unused:UNUSED_PAD src0_sel:DWORD src1_sel:WORD_1
	v_fma_f16 v24, v8, v10, v24
	v_mul_f16_sdwa v8, v8, v10 dst_sel:DWORD dst_unused:UNUSED_PAD src0_sel:DWORD src1_sel:WORD_1
	v_fma_f16 v25, v9, v12, v25
	;; [unrolled: 2-line block ×3, first 2 shown]
	v_fma_f16 v8, v14, v10, -v8
	v_fma_f16 v7, v7, v12, -v9
	v_sub_f16_e32 v9, v4, v21
	v_sub_f16_e32 v10, v24, v25
	;; [unrolled: 1-line block ×4, first 2 shown]
	v_add_f16_e32 v12, v6, v7
	v_fma_f16 v4, v4, 2.0, -v9
	v_fma_f16 v7, v8, 2.0, -v7
	;; [unrolled: 1-line block ×4, first 2 shown]
	v_mul_f16_sdwa v14, v20, v19 dst_sel:DWORD dst_unused:UNUSED_PAD src0_sel:DWORD src1_sel:WORD_1
	v_sub_f16_e32 v11, v9, v10
	v_sub_f16_e32 v7, v4, v7
	;; [unrolled: 1-line block ×3, first 2 shown]
	v_fma_f16 v14, v19, v18, v14
	v_mul_f16_e32 v10, v12, v16
	v_mul_f16_e32 v13, v11, v16
	;; [unrolled: 1-line block ×4, first 2 shown]
	v_fma_f16 v16, v7, v17, -v16
	v_fma_f16 v14, v8, v17, v14
	v_lshrrev_b32_e32 v17, 10, v1
	v_and_b32_e32 v18, 63, v1
	v_lshrrev_b32_e32 v1, 4, v1
	v_fma_f16 v10, v11, v26, -v10
	v_fma_f16 v9, v9, 2.0, -v11
	v_lshrrev_b32_e32 v11, 16, v23
	v_and_b32_e32 v17, 0xfc, v17
	v_and_b32_e32 v1, 0xfc, v1
	v_add_u32_e32 v17, s2, v17
	v_lshl_add_u32 v18, v18, 2, 0
	v_add_u32_e32 v1, s2, v1
	s_waitcnt lgkmcnt(0)
	v_mul_f16_sdwa v19, v11, v15 dst_sel:DWORD dst_unused:UNUSED_PAD src0_sel:DWORD src1_sel:WORD_1
	ds_read_b32 v17, v17 offset:512
	ds_read_b32 v18, v18 offset:2016
	;; [unrolled: 1-line block ×3, first 2 shown]
	v_fma_f16 v19, v23, v15, -v19
	v_mul_f16_sdwa v20, v23, v15 dst_sel:DWORD dst_unused:UNUSED_PAD src0_sel:DWORD src1_sel:WORD_1
	v_fma_f16 v13, v12, v26, v13
	v_fma_f16 v11, v11, v15, v20
	v_fma_f16 v6, v6, 2.0, -v12
	v_mul_f16_sdwa v12, v19, v22 dst_sel:DWORD dst_unused:UNUSED_PAD src0_sel:DWORD src1_sel:WORD_1
	v_mul_f16_sdwa v15, v11, v22 dst_sel:DWORD dst_unused:UNUSED_PAD src0_sel:DWORD src1_sel:WORD_1
	v_fma_f16 v11, v22, v11, v12
	v_fma_f16 v15, v22, v19, -v15
	v_mul_f16_e32 v12, v6, v11
	v_fma_f16 v12, v9, v15, -v12
	v_mul_f16_e32 v9, v9, v11
	v_fma_f16 v7, v4, 2.0, -v7
	s_waitcnt lgkmcnt(1)
	v_lshrrev_b32_e32 v4, 16, v18
	v_fma_f16 v6, v6, v15, v9
	s_waitcnt lgkmcnt(0)
	v_mul_f16_sdwa v9, v4, v1 dst_sel:DWORD dst_unused:UNUSED_PAD src0_sel:DWORD src1_sel:WORD_1
	v_mul_f16_sdwa v11, v18, v1 dst_sel:DWORD dst_unused:UNUSED_PAD src0_sel:DWORD src1_sel:WORD_1
	v_fma_f16 v9, v18, v1, -v9
	v_fma_f16 v1, v4, v1, v11
	v_mul_f16_sdwa v4, v1, v17 dst_sel:DWORD dst_unused:UNUSED_PAD src0_sel:DWORD src1_sel:WORD_1
	v_fma_f16 v11, v17, v9, -v4
	v_mul_f16_sdwa v4, v9, v17 dst_sel:DWORD dst_unused:UNUSED_PAD src0_sel:DWORD src1_sel:WORD_1
	s_mov_b32 s2, 0x1041042
	v_fma_f16 v8, v5, 2.0, -v8
	v_fma_f16 v9, v17, v1, v4
	v_mul_hi_u32 v4, v0, s2
	v_mul_f16_e32 v1, v8, v9
	v_fma_f16 v15, v7, v11, -v1
	v_mad_u64_u32 v[0:1], s[2:3], s18, v3, 0
	s_movk_i32 s2, 0xa8
	v_mad_u32_u24 v17, v4, s2, v2
	v_mad_u64_u32 v[4:5], s[2:3], s16, v17, 0
	v_mad_u64_u32 v[1:2], s[2:3], s19, v3, v[1:2]
	v_mov_b32_e32 v2, v5
	v_mad_u64_u32 v[2:3], s[2:3], s17, v17, v[2:3]
	s_add_u32 s2, s22, s0
	s_addc_u32 s3, s23, s1
	s_lshl_b64 s[0:1], s[8:9], 2
	s_add_u32 s2, s2, s0
	v_mul_f16_e32 v3, v7, v9
	s_addc_u32 s0, s3, s1
	v_add_u32_e32 v9, 42, v17
	v_fma_f16 v7, v8, v11, v3
	v_mov_b32_e32 v5, v2
	v_lshlrev_b64 v[0:1], 2, v[0:1]
	v_mov_b32_e32 v8, s0
	v_mad_u64_u32 v[2:3], s[0:1], s16, v9, 0
	v_add_co_u32_e32 v11, vcc, s2, v0
	v_addc_co_u32_e32 v8, vcc, v8, v1, vcc
	v_lshlrev_b64 v[0:1], 2, v[4:5]
	v_mad_u64_u32 v[3:4], s[0:1], s17, v9, v[3:4]
	v_add_co_u32_e32 v0, vcc, v11, v0
	v_addc_co_u32_e32 v1, vcc, v8, v1, vcc
	v_pack_b32_f16 v4, v7, v15
	global_store_dword v[0:1], v4, off
	v_add_u32_e32 v4, 0x54, v17
	v_lshlrev_b64 v[0:1], 2, v[2:3]
	v_mad_u64_u32 v[2:3], s[0:1], s16, v4, 0
	v_add_u32_e32 v7, 0x7e, v17
	v_add_co_u32_e32 v0, vcc, v11, v0
	v_mad_u64_u32 v[3:4], s[0:1], s17, v4, v[3:4]
	v_mad_u64_u32 v[4:5], s[0:1], s16, v7, 0
	v_addc_co_u32_e32 v1, vcc, v8, v1, vcc
	v_pack_b32_f16 v6, v6, v12
	global_store_dword v[0:1], v6, off
	v_lshlrev_b64 v[0:1], 2, v[2:3]
	v_mov_b32_e32 v2, v5
	v_mad_u64_u32 v[2:3], s[0:1], s17, v7, v[2:3]
	v_add_co_u32_e32 v0, vcc, v11, v0
	v_addc_co_u32_e32 v1, vcc, v8, v1, vcc
	v_pack_b32_f16 v3, v14, v16
	v_mov_b32_e32 v5, v2
	global_store_dword v[0:1], v3, off
	v_lshlrev_b64 v[0:1], 2, v[4:5]
	v_pack_b32_f16 v2, v13, v10
	v_add_co_u32_e32 v0, vcc, v11, v0
	v_addc_co_u32_e32 v1, vcc, v8, v1, vcc
	global_store_dword v[0:1], v2, off
.LBB0_32:
	s_endpgm
	.section	.rodata,"a",@progbits
	.p2align	6, 0x0
	.amdhsa_kernel fft_rtc_back_len168_factors_7_6_4_wgs_252_tpt_42_halfLds_half_op_CI_CI_sbcc_twdbase6_3step_dirReg
		.amdhsa_group_segment_fixed_size 0
		.amdhsa_private_segment_fixed_size 0
		.amdhsa_kernarg_size 112
		.amdhsa_user_sgpr_count 6
		.amdhsa_user_sgpr_private_segment_buffer 1
		.amdhsa_user_sgpr_dispatch_ptr 0
		.amdhsa_user_sgpr_queue_ptr 0
		.amdhsa_user_sgpr_kernarg_segment_ptr 1
		.amdhsa_user_sgpr_dispatch_id 0
		.amdhsa_user_sgpr_flat_scratch_init 0
		.amdhsa_user_sgpr_private_segment_size 0
		.amdhsa_uses_dynamic_stack 0
		.amdhsa_system_sgpr_private_segment_wavefront_offset 0
		.amdhsa_system_sgpr_workgroup_id_x 1
		.amdhsa_system_sgpr_workgroup_id_y 0
		.amdhsa_system_sgpr_workgroup_id_z 0
		.amdhsa_system_sgpr_workgroup_info 0
		.amdhsa_system_vgpr_workitem_id 0
		.amdhsa_next_free_vgpr 32
		.amdhsa_next_free_sgpr 55
		.amdhsa_reserve_vcc 1
		.amdhsa_reserve_flat_scratch 0
		.amdhsa_float_round_mode_32 0
		.amdhsa_float_round_mode_16_64 0
		.amdhsa_float_denorm_mode_32 3
		.amdhsa_float_denorm_mode_16_64 3
		.amdhsa_dx10_clamp 1
		.amdhsa_ieee_mode 1
		.amdhsa_fp16_overflow 0
		.amdhsa_exception_fp_ieee_invalid_op 0
		.amdhsa_exception_fp_denorm_src 0
		.amdhsa_exception_fp_ieee_div_zero 0
		.amdhsa_exception_fp_ieee_overflow 0
		.amdhsa_exception_fp_ieee_underflow 0
		.amdhsa_exception_fp_ieee_inexact 0
		.amdhsa_exception_int_div_zero 0
	.end_amdhsa_kernel
	.text
.Lfunc_end0:
	.size	fft_rtc_back_len168_factors_7_6_4_wgs_252_tpt_42_halfLds_half_op_CI_CI_sbcc_twdbase6_3step_dirReg, .Lfunc_end0-fft_rtc_back_len168_factors_7_6_4_wgs_252_tpt_42_halfLds_half_op_CI_CI_sbcc_twdbase6_3step_dirReg
                                        ; -- End function
	.section	.AMDGPU.csdata,"",@progbits
; Kernel info:
; codeLenInByte = 5748
; NumSgprs: 59
; NumVgprs: 32
; ScratchSize: 0
; MemoryBound: 0
; FloatMode: 240
; IeeeMode: 1
; LDSByteSize: 0 bytes/workgroup (compile time only)
; SGPRBlocks: 7
; VGPRBlocks: 7
; NumSGPRsForWavesPerEU: 59
; NumVGPRsForWavesPerEU: 32
; Occupancy: 8
; WaveLimiterHint : 1
; COMPUTE_PGM_RSRC2:SCRATCH_EN: 0
; COMPUTE_PGM_RSRC2:USER_SGPR: 6
; COMPUTE_PGM_RSRC2:TRAP_HANDLER: 0
; COMPUTE_PGM_RSRC2:TGID_X_EN: 1
; COMPUTE_PGM_RSRC2:TGID_Y_EN: 0
; COMPUTE_PGM_RSRC2:TGID_Z_EN: 0
; COMPUTE_PGM_RSRC2:TIDIG_COMP_CNT: 0
	.type	__hip_cuid_d3125a6a72be4586,@object ; @__hip_cuid_d3125a6a72be4586
	.section	.bss,"aw",@nobits
	.globl	__hip_cuid_d3125a6a72be4586
__hip_cuid_d3125a6a72be4586:
	.byte	0                               ; 0x0
	.size	__hip_cuid_d3125a6a72be4586, 1

	.ident	"AMD clang version 19.0.0git (https://github.com/RadeonOpenCompute/llvm-project roc-6.4.0 25133 c7fe45cf4b819c5991fe208aaa96edf142730f1d)"
	.section	".note.GNU-stack","",@progbits
	.addrsig
	.addrsig_sym __hip_cuid_d3125a6a72be4586
	.amdgpu_metadata
---
amdhsa.kernels:
  - .args:
      - .actual_access:  read_only
        .address_space:  global
        .offset:         0
        .size:           8
        .value_kind:     global_buffer
      - .address_space:  global
        .offset:         8
        .size:           8
        .value_kind:     global_buffer
      - .offset:         16
        .size:           8
        .value_kind:     by_value
      - .actual_access:  read_only
        .address_space:  global
        .offset:         24
        .size:           8
        .value_kind:     global_buffer
      - .actual_access:  read_only
        .address_space:  global
        .offset:         32
        .size:           8
        .value_kind:     global_buffer
      - .actual_access:  read_only
        .address_space:  global
        .offset:         40
        .size:           8
        .value_kind:     global_buffer
      - .offset:         48
        .size:           8
        .value_kind:     by_value
      - .actual_access:  read_only
        .address_space:  global
        .offset:         56
        .size:           8
        .value_kind:     global_buffer
      - .actual_access:  read_only
        .address_space:  global
        .offset:         64
        .size:           8
        .value_kind:     global_buffer
      - .offset:         72
        .size:           4
        .value_kind:     by_value
      - .actual_access:  read_only
        .address_space:  global
        .offset:         80
        .size:           8
        .value_kind:     global_buffer
      - .actual_access:  read_only
        .address_space:  global
        .offset:         88
        .size:           8
        .value_kind:     global_buffer
      - .actual_access:  read_only
        .address_space:  global
        .offset:         96
        .size:           8
        .value_kind:     global_buffer
      - .actual_access:  write_only
        .address_space:  global
        .offset:         104
        .size:           8
        .value_kind:     global_buffer
    .group_segment_fixed_size: 0
    .kernarg_segment_align: 8
    .kernarg_segment_size: 112
    .language:       OpenCL C
    .language_version:
      - 2
      - 0
    .max_flat_workgroup_size: 252
    .name:           fft_rtc_back_len168_factors_7_6_4_wgs_252_tpt_42_halfLds_half_op_CI_CI_sbcc_twdbase6_3step_dirReg
    .private_segment_fixed_size: 0
    .sgpr_count:     59
    .sgpr_spill_count: 0
    .symbol:         fft_rtc_back_len168_factors_7_6_4_wgs_252_tpt_42_halfLds_half_op_CI_CI_sbcc_twdbase6_3step_dirReg.kd
    .uniform_work_group_size: 1
    .uses_dynamic_stack: false
    .vgpr_count:     32
    .vgpr_spill_count: 0
    .wavefront_size: 64
amdhsa.target:   amdgcn-amd-amdhsa--gfx906
amdhsa.version:
  - 1
  - 2
...

	.end_amdgpu_metadata
